;; amdgpu-corpus repo=zjin-lcf/HeCBench kind=compiled arch=gfx1250 opt=O3
	.amdgcn_target "amdgcn-amd-amdhsa--gfx1250"
	.amdhsa_code_object_version 6
	.text
	.protected	_Z3lifmifPKfPfS1_ffS0_S0_S1_ ; -- Begin function _Z3lifmifPKfPfS1_ffS0_S0_S1_
	.globl	_Z3lifmifPKfPfS1_ffS0_S0_S1_
	.p2align	8
	.type	_Z3lifmifPKfPfS1_ffS0_S0_S1_,@function
_Z3lifmifPKfPfS1_ffS0_S0_S1_:           ; @_Z3lifmifPKfPfS1_ffS0_S0_S1_
; %bb.0:
	s_clause 0x1
	s_load_b32 s4, s[0:1], 0x54
	s_load_b64 s[2:3], s[0:1], 0x0
	s_bfe_u32 s5, ttmp6, 0x4000c
	v_mov_b32_e32 v2, 0
	s_add_co_i32 s5, s5, 1
	s_and_b32 s6, ttmp6, 15
	s_mul_i32 s5, ttmp9, s5
	s_getreg_b32 s7, hwreg(HW_REG_IB_STS2, 6, 4)
	v_mov_b32_e32 v1, v2
	s_add_co_i32 s6, s6, s5
	s_wait_kmcnt 0x0
	s_and_b32 s4, s4, 0xffff
	s_cmp_eq_u32 s7, 0
	s_cselect_b32 s5, ttmp9, s6
	s_delay_alu instid0(SALU_CYCLE_1) | instskip(NEXT) | instid1(VALU_DEP_1)
	v_mad_nc_u64_u32 v[0:1], s4, s5, v[0:1]
	v_cmp_gt_u64_e32 vcc_lo, s[2:3], v[0:1]
	s_and_saveexec_b32 s2, vcc_lo
	s_cbranch_execz .LBB0_8
; %bb.1:
	s_load_b64 s[2:3], s[0:1], 0x8
	s_wait_kmcnt 0x0
	s_ashr_i32 s13, s2, 31
	s_mov_b32 s12, s2
	v_or_b32_e32 v3, s13, v1
	s_delay_alu instid0(VALU_DEP_1) | instskip(SKIP_1) | instid1(SALU_CYCLE_1)
	v_cmp_ne_u64_e32 vcc_lo, 0, v[2:3]
                                        ; implicit-def: $vgpr2_vgpr3
	s_and_saveexec_b32 s2, vcc_lo
	s_xor_b32 s4, exec_lo, s2
	s_cbranch_execz .LBB0_3
; %bb.2:
	s_cvt_f32_u32 s2, s12
	s_cvt_f32_u32 s5, s13
	s_sub_nc_u64 s[8:9], 0, s[12:13]
	s_mov_b32 s15, 0
	v_dual_mov_b32 v3, 0 :: v_dual_mov_b32 v2, v0
	s_fmamk_f32 s2, s5, 0x4f800000, s2
	s_delay_alu instid0(SALU_CYCLE_3) | instskip(NEXT) | instid1(TRANS32_DEP_1)
	v_s_rcp_f32 s2, s2
	s_mul_f32 s2, s2, 0x5f7ffffc
	s_delay_alu instid0(SALU_CYCLE_3) | instskip(NEXT) | instid1(SALU_CYCLE_3)
	s_mul_f32 s5, s2, 0x2f800000
	s_trunc_f32 s5, s5
	s_delay_alu instid0(SALU_CYCLE_3) | instskip(SKIP_1) | instid1(SALU_CYCLE_2)
	s_fmamk_f32 s2, s5, 0xcf800000, s2
	s_cvt_u32_f32 s7, s5
	s_cvt_u32_f32 s6, s2
	s_delay_alu instid0(SALU_CYCLE_3) | instskip(NEXT) | instid1(SALU_CYCLE_1)
	s_mul_u64 s[10:11], s[8:9], s[6:7]
	s_mul_hi_u32 s17, s6, s11
	s_mul_i32 s16, s6, s11
	s_mul_hi_u32 s14, s6, s10
	s_mul_i32 s5, s7, s10
	s_add_nc_u64 s[16:17], s[14:15], s[16:17]
	s_mul_hi_u32 s2, s7, s10
	s_mul_hi_u32 s18, s7, s11
	s_add_co_u32 s5, s16, s5
	s_add_co_ci_u32 s14, s17, s2
	s_mul_i32 s10, s7, s11
	s_add_co_ci_u32 s11, s18, 0
	s_delay_alu instid0(SALU_CYCLE_1) | instskip(NEXT) | instid1(SALU_CYCLE_1)
	s_add_nc_u64 s[10:11], s[14:15], s[10:11]
	s_add_co_u32 s6, s6, s10
	s_cselect_b32 s2, -1, 0
	s_delay_alu instid0(SALU_CYCLE_1) | instskip(SKIP_1) | instid1(SALU_CYCLE_1)
	s_cmp_lg_u32 s2, 0
	s_add_co_ci_u32 s7, s7, s11
	s_mul_u64 s[8:9], s[8:9], s[6:7]
	s_delay_alu instid0(SALU_CYCLE_1)
	s_mul_hi_u32 s11, s6, s9
	s_mul_i32 s10, s6, s9
	s_mul_hi_u32 s14, s6, s8
	s_mul_i32 s5, s7, s8
	s_add_nc_u64 s[10:11], s[14:15], s[10:11]
	s_mul_hi_u32 s2, s7, s8
	s_mul_hi_u32 s16, s7, s9
	s_add_co_u32 s5, s10, s5
	s_add_co_ci_u32 s14, s11, s2
	s_mul_i32 s8, s7, s9
	s_add_co_ci_u32 s9, s16, 0
	s_delay_alu instid0(SALU_CYCLE_1) | instskip(NEXT) | instid1(SALU_CYCLE_1)
	s_add_nc_u64 s[8:9], s[14:15], s[8:9]
	s_add_co_u32 s2, s6, s8
	s_cselect_b32 s5, -1, 0
	s_delay_alu instid0(SALU_CYCLE_1)
	s_cmp_lg_u32 s5, 0
	s_add_co_ci_u32 s14, s7, s9
	s_mov_b64 s[6:7], 0xffffffff
	v_mul_u64_e32 v[4:5], s[14:15], v[2:3]
	v_mul_hi_u32 v2, v0, s2
	s_and_b64 s[6:7], s[2:3], s[6:7]
	s_delay_alu instid0(VALU_DEP_1) | instskip(SKIP_1) | instid1(VALU_DEP_1)
	v_add_nc_u64_e32 v[4:5], v[2:3], v[4:5]
	v_mov_b32_e32 v2, v1
	v_mul_u64_e32 v[6:7], s[6:7], v[2:3]
	v_mul_u64_e32 v[8:9], s[14:15], v[2:3]
	s_delay_alu instid0(VALU_DEP_2) | instskip(NEXT) | instid1(VALU_DEP_3)
	v_add_co_u32 v2, vcc_lo, v4, v6
	v_add_co_ci_u32_e32 v2, vcc_lo, v5, v7, vcc_lo
	s_delay_alu instid0(VALU_DEP_3) | instskip(NEXT) | instid1(VALU_DEP_1)
	v_add_co_ci_u32_e32 v9, vcc_lo, 0, v9, vcc_lo
	v_add_nc_u64_e32 v[2:3], v[2:3], v[8:9]
	s_delay_alu instid0(VALU_DEP_1) | instskip(SKIP_1) | instid1(VALU_DEP_2)
	v_mul_u64_e32 v[4:5], s[12:13], v[2:3]
	v_add_nc_u64_e32 v[6:7], 2, v[2:3]
	v_sub_nc_u32_e32 v8, v1, v5
	s_delay_alu instid0(VALU_DEP_3) | instskip(NEXT) | instid1(VALU_DEP_1)
	v_sub_co_u32 v4, vcc_lo, v0, v4
	v_sub_co_ci_u32_e64 v5, null, v1, v5, vcc_lo
	s_delay_alu instid0(VALU_DEP_3) | instskip(SKIP_1) | instid1(VALU_DEP_4)
	v_subrev_co_ci_u32_e64 v7, null, s13, v8, vcc_lo
	v_add_nc_u64_e32 v[8:9], 1, v[2:3]
	v_sub_co_u32 v3, s2, v4, s12
	s_delay_alu instid0(VALU_DEP_1) | instskip(NEXT) | instid1(VALU_DEP_2)
	v_subrev_co_ci_u32_e64 v7, null, 0, v7, s2
	v_cmp_le_u32_e32 vcc_lo, s12, v3
	v_cndmask_b32_e64 v3, 0, -1, vcc_lo
	s_delay_alu instid0(VALU_DEP_3)
	v_cmp_le_u32_e32 vcc_lo, s13, v7
	v_cndmask_b32_e64 v9, 0, -1, vcc_lo
	v_cmp_le_u32_e32 vcc_lo, s12, v4
	v_cndmask_b32_e64 v4, 0, -1, vcc_lo
	;; [unrolled: 2-line block ×3, first 2 shown]
	v_cmp_eq_u32_e32 vcc_lo, s13, v7
	v_cndmask_b32_e32 v3, v9, v3, vcc_lo
	v_cmp_eq_u32_e32 vcc_lo, s13, v5
	s_delay_alu instid0(VALU_DEP_4) | instskip(NEXT) | instid1(VALU_DEP_3)
	v_cndmask_b32_e32 v4, v10, v4, vcc_lo
	v_cmp_ne_u32_e32 vcc_lo, 0, v3
	v_cndmask_b32_e32 v3, v8, v6, vcc_lo
	s_delay_alu instid0(VALU_DEP_3) | instskip(NEXT) | instid1(VALU_DEP_2)
	v_cmp_ne_u32_e32 vcc_lo, 0, v4
	v_cndmask_b32_e32 v2, v2, v3, vcc_lo
.LBB0_3:
	s_or_saveexec_b32 s2, s4
	s_clause 0x2
	s_load_b128 s[4:7], s[0:1], 0x10
	s_load_b64 s[14:15], s[0:1], 0x20
	s_load_b128 s[8:11], s[0:1], 0x30
	s_xor_b32 exec_lo, exec_lo, s2
	s_cbranch_execz .LBB0_5
; %bb.4:
	v_cvt_f32_u32_e32 v2, s12
	s_sub_co_i32 s13, 0, s12
	s_delay_alu instid0(VALU_DEP_1) | instskip(SKIP_1) | instid1(TRANS32_DEP_1)
	v_rcp_iflag_f32_e32 v2, v2
	v_nop
	v_mul_f32_e32 v2, 0x4f7ffffe, v2
	s_delay_alu instid0(VALU_DEP_1) | instskip(NEXT) | instid1(VALU_DEP_1)
	v_cvt_u32_f32_e32 v2, v2
	v_mul_lo_u32 v3, s13, v2
	s_delay_alu instid0(VALU_DEP_1) | instskip(NEXT) | instid1(VALU_DEP_1)
	v_mul_hi_u32 v3, v2, v3
	v_add_nc_u32_e32 v2, v2, v3
	s_delay_alu instid0(VALU_DEP_1) | instskip(NEXT) | instid1(VALU_DEP_1)
	v_mul_hi_u32 v2, v0, v2
	v_mul_lo_u32 v3, v2, s12
	s_delay_alu instid0(VALU_DEP_1) | instskip(NEXT) | instid1(VALU_DEP_1)
	v_dual_add_nc_u32 v4, 1, v2 :: v_dual_sub_nc_u32 v3, v0, v3
	v_subrev_nc_u32_e32 v5, s12, v3
	v_cmp_le_u32_e32 vcc_lo, s12, v3
	s_delay_alu instid0(VALU_DEP_2) | instskip(NEXT) | instid1(VALU_DEP_1)
	v_dual_cndmask_b32 v3, v3, v5 :: v_dual_cndmask_b32 v2, v2, v4
	v_cmp_le_u32_e32 vcc_lo, s12, v3
	s_delay_alu instid0(VALU_DEP_2) | instskip(NEXT) | instid1(VALU_DEP_1)
	v_add_nc_u32_e32 v4, 1, v2
	v_cndmask_b32_e32 v2, v2, v4, vcc_lo
.LBB0_5:
	s_or_b32 exec_lo, exec_lo, s2
	s_delay_alu instid0(VALU_DEP_1) | instskip(SKIP_2) | instid1(VALU_DEP_3)
	v_mul_lo_u32 v3, v2, s12
	v_mov_b32_e32 v6, 0
	v_lshlrev_b64_e32 v[8:9], 2, v[0:1]
	v_sub_nc_u32_e32 v7, v0, v3
	s_delay_alu instid0(VALU_DEP_1) | instskip(SKIP_1) | instid1(VALU_DEP_1)
	v_ashrrev_i64 v[4:5], 30, v[6:7]
	v_mov_b32_e32 v7, v2
	v_ashrrev_i64 v[2:3], 30, v[6:7]
	s_wait_kmcnt 0x0
	s_delay_alu instid0(VALU_DEP_3) | instskip(SKIP_2) | instid1(VALU_DEP_4)
	v_add_nc_u64_e32 v[10:11], s[8:9], v[4:5]
	v_add_nc_u64_e32 v[12:13], s[10:11], v[4:5]
	;; [unrolled: 1-line block ×5, first 2 shown]
	s_load_b64 s[4:5], s[0:1], 0x28
	s_mov_b32 s6, 0x395133b1
	global_load_b32 v8, v[10:11], off
	global_load_b32 v7, v[12:13], off
	;; [unrolled: 1-line block ×5, first 2 shown]
	s_load_b64 s[0:1], s[0:1], 0x40
	s_wait_kmcnt 0x0
	v_div_scale_f32 v10, null, s4, s4, -s3
	v_div_scale_f32 v13, vcc_lo, -s3, s4, -s3
	s_delay_alu instid0(VALU_DEP_2)
	v_rcp_f32_e32 v11, v10
	v_nop
	v_xor_b32_e32 v10, 0x80000000, v10
	s_delay_alu instid0(TRANS32_DEP_1) | instid1(VALU_DEP_1)
	v_fma_f32 v12, v10, v11, 1.0
	s_delay_alu instid0(VALU_DEP_1) | instskip(NEXT) | instid1(VALU_DEP_1)
	v_fmac_f32_e32 v11, v12, v11
	v_mul_f32_e32 v12, v13, v11
	s_delay_alu instid0(VALU_DEP_1) | instskip(NEXT) | instid1(VALU_DEP_1)
	v_fma_f32 v14, v10, v12, v13
	v_fmac_f32_e32 v12, v14, v11
	s_delay_alu instid0(VALU_DEP_1) | instskip(NEXT) | instid1(VALU_DEP_1)
	v_fmac_f32_e32 v13, v10, v12
	v_div_fmas_f32 v10, v13, v11, v12
	v_div_scale_f32 v11, null, s3, s3, 1.0
	v_div_scale_f32 v15, vcc_lo, 1.0, s3, 1.0
	s_delay_alu instid0(VALU_DEP_3) | instskip(NEXT) | instid1(VALU_DEP_3)
	v_div_fixup_f32 v10, v10, s4, -s3
	v_rcp_f32_e32 v12, v11
	v_nop
	v_xor_b32_e32 v11, 0x80000000, v11
	s_delay_alu instid0(VALU_DEP_3)
	v_readfirstlane_b32 s2, v10
	s_delay_alu instid0(TRANS32_DEP_1) | instid1(VALU_DEP_2)
	v_fma_f32 v13, v11, v12, 1.0
	s_mul_f32 s4, s2, 0x3fb8aa3b
	s_delay_alu instid0(SALU_CYCLE_3) | instskip(NEXT) | instid1(SALU_CYCLE_3)
	s_rndne_f32 s4, s4
	s_fmamk_f32 s2, s4, 0xbf317218, s2
	s_cvt_i32_f32 s7, s4
	s_cmp_eq_f32 s4, 0x43000000
	s_delay_alu instid0(SALU_CYCLE_1) | instskip(NEXT) | instid1(SALU_CYCLE_1)
	s_fmamk_f32 s2, s4, 0x3102e308, s2
	v_ldexp_f32 v14, 1.0, s7
	s_delay_alu instid0(SALU_CYCLE_2) | instskip(NEXT) | instid1(VALU_DEP_1)
	s_fmaak_f32 s6, s2, s6, 0x3ab69700
	v_readfirstlane_b32 s7, v14
	s_delay_alu instid0(SALU_CYCLE_2) | instskip(NEXT) | instid1(SALU_CYCLE_3)
	s_fmaak_f32 s6, s2, s6, 0x3c0887f9
	s_fmaak_f32 s6, s2, s6, 0x3d2aaa81
	s_delay_alu instid0(SALU_CYCLE_3) | instskip(NEXT) | instid1(SALU_CYCLE_3)
	s_fmaak_f32 s6, s2, s6, 0x3e2aaaab
	s_fmaak_f32 s6, s2, s6, 0x3f000000
	s_delay_alu instid0(SALU_CYCLE_3) | instskip(SKIP_1) | instid1(SALU_CYCLE_1)
	s_mul_f32 s4, s2, s6
	s_cselect_b32 s6, 0x7f000000, s7
	s_add_f32 s7, s6, -1.0
	s_delay_alu instid0(SALU_CYCLE_1) | instskip(NEXT) | instid1(SALU_CYCLE_3)
	s_fmac_f32 s2, s2, s4
	s_fmac_f32 s7, s6, s2
	s_delay_alu instid0(SALU_CYCLE_3) | instskip(NEXT) | instid1(SALU_CYCLE_3)
	s_add_f32 s2, s7, s7
	s_cselect_b32 s2, s2, s7
	s_delay_alu instid0(SALU_CYCLE_1) | instskip(SKIP_1) | instid1(VALU_DEP_1)
	s_xor_b32 s2, s2, 0x80000000
	v_fmac_f32_e32 v12, v13, v12
	v_mul_f32_e32 v13, v15, v12
	s_delay_alu instid0(VALU_DEP_1) | instskip(SKIP_1) | instid1(VALU_DEP_1)
	v_fma_f32 v14, v11, v13, v15
	s_wait_loadcnt 0x2
	v_dual_fmac_f32 v13, v14, v12 :: v_dual_fmac_f32 v8, v7, v9
	s_delay_alu instid0(VALU_DEP_1) | instskip(SKIP_1) | instid1(VALU_DEP_1)
	v_dual_fmac_f32 v15, v11, v13 :: v_dual_mov_b32 v11, s2
	s_mov_b32 s2, exec_lo
	v_div_fmas_f32 v12, v15, v12, v13
	v_cmp_nlt_f32_e32 vcc_lo, 0x42b17217, v10
	s_delay_alu instid0(VALU_DEP_2) | instskip(SKIP_3) | instid1(VALU_DEP_2)
	v_div_fixup_f32 v7, v12, s3, 1.0
	v_cndmask_b32_e32 v11, 0xff800000, v11, vcc_lo
	v_cmp_ngt_f32_e32 vcc_lo, 0xc1880000, v10
	s_wait_loadcnt 0x1
	v_dual_cndmask_b32 v10, 1.0, v11 :: v_dual_sub_f32 v11, v8, v16
	s_wait_loadcnt 0x0
	v_subrev_f32_e32 v8, s3, v17
	s_delay_alu instid0(VALU_DEP_1) | instskip(NEXT) | instid1(VALU_DEP_1)
	v_fma_f32 v9, -v7, v8, 1.0
	v_minmax_num_f32 v9, v9, 1.0, 0
	v_fmac_f32_e32 v16, v10, v11
	s_delay_alu instid0(VALU_DEP_1) | instskip(NEXT) | instid1(VALU_DEP_1)
	v_max_num_f32_e32 v12, 0, v16
	v_mul_f32_e32 v9, v9, v12
	s_delay_alu instid0(VALU_DEP_1)
	v_cmpx_lt_f32_e32 1.0, v9
	s_cbranch_execz .LBB0_7
; %bb.6:
	v_dual_mul_f32 v6, v10, v11 :: v_dual_add_f32 v8, -1.0, v9
	s_delay_alu instid0(VALU_DEP_1) | instskip(SKIP_1) | instid1(VALU_DEP_2)
	v_div_scale_f32 v9, null, v6, v6, v8
	v_div_scale_f32 v12, vcc_lo, v8, v6, v8
	v_rcp_f32_e32 v10, v9
	v_nop
	s_delay_alu instid0(TRANS32_DEP_1) | instskip(NEXT) | instid1(VALU_DEP_1)
	v_fma_f32 v11, -v9, v10, 1.0
	v_fmac_f32_e32 v10, v11, v10
	s_delay_alu instid0(VALU_DEP_1) | instskip(NEXT) | instid1(VALU_DEP_1)
	v_mul_f32_e32 v11, v12, v10
	v_fma_f32 v13, -v9, v11, v12
	s_delay_alu instid0(VALU_DEP_1) | instskip(NEXT) | instid1(VALU_DEP_1)
	v_fmac_f32_e32 v11, v13, v10
	v_fma_f32 v9, -v9, v11, v12
	s_delay_alu instid0(VALU_DEP_1) | instskip(NEXT) | instid1(VALU_DEP_1)
	v_div_fmas_f32 v9, v9, v10, v11
	v_div_fixup_f32 v6, v9, v6, v8
	s_delay_alu instid0(VALU_DEP_1) | instskip(NEXT) | instid1(VALU_DEP_1)
	v_dual_mov_b32 v9, 0 :: v_dual_sub_f32 v6, 1.0, v6
	v_fma_f32 v8, s3, v6, s5
	v_mov_b32_e32 v6, v7
.LBB0_7:
	s_or_b32 exec_lo, exec_lo, s2
	v_lshl_add_u64 v[0:1], v[0:1], 2, s[0:1]
	global_store_b32 v[4:5], v8, off
	global_store_b32 v[2:3], v9, off
	;; [unrolled: 1-line block ×3, first 2 shown]
.LBB0_8:
	s_endpgm
	.section	.rodata,"a",@progbits
	.p2align	6, 0x0
	.amdhsa_kernel _Z3lifmifPKfPfS1_ffS0_S0_S1_
		.amdhsa_group_segment_fixed_size 0
		.amdhsa_private_segment_fixed_size 0
		.amdhsa_kernarg_size 328
		.amdhsa_user_sgpr_count 2
		.amdhsa_user_sgpr_dispatch_ptr 0
		.amdhsa_user_sgpr_queue_ptr 0
		.amdhsa_user_sgpr_kernarg_segment_ptr 1
		.amdhsa_user_sgpr_dispatch_id 0
		.amdhsa_user_sgpr_kernarg_preload_length 0
		.amdhsa_user_sgpr_kernarg_preload_offset 0
		.amdhsa_user_sgpr_private_segment_size 0
		.amdhsa_wavefront_size32 1
		.amdhsa_uses_dynamic_stack 0
		.amdhsa_enable_private_segment 0
		.amdhsa_system_sgpr_workgroup_id_x 1
		.amdhsa_system_sgpr_workgroup_id_y 0
		.amdhsa_system_sgpr_workgroup_id_z 0
		.amdhsa_system_sgpr_workgroup_info 0
		.amdhsa_system_vgpr_workitem_id 0
		.amdhsa_next_free_vgpr 18
		.amdhsa_next_free_sgpr 19
		.amdhsa_named_barrier_count 0
		.amdhsa_reserve_vcc 1
		.amdhsa_float_round_mode_32 0
		.amdhsa_float_round_mode_16_64 0
		.amdhsa_float_denorm_mode_32 3
		.amdhsa_float_denorm_mode_16_64 3
		.amdhsa_fp16_overflow 0
		.amdhsa_memory_ordered 1
		.amdhsa_forward_progress 1
		.amdhsa_inst_pref_size 13
		.amdhsa_round_robin_scheduling 0
		.amdhsa_exception_fp_ieee_invalid_op 0
		.amdhsa_exception_fp_denorm_src 0
		.amdhsa_exception_fp_ieee_div_zero 0
		.amdhsa_exception_fp_ieee_overflow 0
		.amdhsa_exception_fp_ieee_underflow 0
		.amdhsa_exception_fp_ieee_inexact 0
		.amdhsa_exception_int_div_zero 0
	.end_amdhsa_kernel
	.text
.Lfunc_end0:
	.size	_Z3lifmifPKfPfS1_ffS0_S0_S1_, .Lfunc_end0-_Z3lifmifPKfPfS1_ffS0_S0_S1_
                                        ; -- End function
	.set _Z3lifmifPKfPfS1_ffS0_S0_S1_.num_vgpr, 18
	.set _Z3lifmifPKfPfS1_ffS0_S0_S1_.num_agpr, 0
	.set _Z3lifmifPKfPfS1_ffS0_S0_S1_.numbered_sgpr, 19
	.set _Z3lifmifPKfPfS1_ffS0_S0_S1_.num_named_barrier, 0
	.set _Z3lifmifPKfPfS1_ffS0_S0_S1_.private_seg_size, 0
	.set _Z3lifmifPKfPfS1_ffS0_S0_S1_.uses_vcc, 1
	.set _Z3lifmifPKfPfS1_ffS0_S0_S1_.uses_flat_scratch, 0
	.set _Z3lifmifPKfPfS1_ffS0_S0_S1_.has_dyn_sized_stack, 0
	.set _Z3lifmifPKfPfS1_ffS0_S0_S1_.has_recursion, 0
	.set _Z3lifmifPKfPfS1_ffS0_S0_S1_.has_indirect_call, 0
	.section	.AMDGPU.csdata,"",@progbits
; Kernel info:
; codeLenInByte = 1640
; TotalNumSgprs: 21
; NumVgprs: 18
; ScratchSize: 0
; MemoryBound: 0
; FloatMode: 240
; IeeeMode: 1
; LDSByteSize: 0 bytes/workgroup (compile time only)
; SGPRBlocks: 0
; VGPRBlocks: 1
; NumSGPRsForWavesPerEU: 21
; NumVGPRsForWavesPerEU: 18
; NamedBarCnt: 0
; Occupancy: 16
; WaveLimiterHint : 0
; COMPUTE_PGM_RSRC2:SCRATCH_EN: 0
; COMPUTE_PGM_RSRC2:USER_SGPR: 2
; COMPUTE_PGM_RSRC2:TRAP_HANDLER: 0
; COMPUTE_PGM_RSRC2:TGID_X_EN: 1
; COMPUTE_PGM_RSRC2:TGID_Y_EN: 0
; COMPUTE_PGM_RSRC2:TGID_Z_EN: 0
; COMPUTE_PGM_RSRC2:TIDIG_COMP_CNT: 0
	.text
	.p2alignl 7, 3214868480
	.fill 96, 4, 3214868480
	.section	.AMDGPU.gpr_maximums,"",@progbits
	.set amdgpu.max_num_vgpr, 0
	.set amdgpu.max_num_agpr, 0
	.set amdgpu.max_num_sgpr, 0
	.text
	.type	__hip_cuid_13783e0517574c66,@object ; @__hip_cuid_13783e0517574c66
	.section	.bss,"aw",@nobits
	.globl	__hip_cuid_13783e0517574c66
__hip_cuid_13783e0517574c66:
	.byte	0                               ; 0x0
	.size	__hip_cuid_13783e0517574c66, 1

	.ident	"AMD clang version 22.0.0git (https://github.com/RadeonOpenCompute/llvm-project roc-7.2.4 26084 f58b06dce1f9c15707c5f808fd002e18c2accf7e)"
	.section	".note.GNU-stack","",@progbits
	.addrsig
	.addrsig_sym __hip_cuid_13783e0517574c66
	.amdgpu_metadata
---
amdhsa.kernels:
  - .args:
      - .offset:         0
        .size:           8
        .value_kind:     by_value
      - .offset:         8
        .size:           4
        .value_kind:     by_value
      - .offset:         12
        .size:           4
        .value_kind:     by_value
      - .actual_access:  read_only
        .address_space:  global
        .offset:         16
        .size:           8
        .value_kind:     global_buffer
      - .address_space:  global
        .offset:         24
        .size:           8
        .value_kind:     global_buffer
      - .address_space:  global
        .offset:         32
        .size:           8
        .value_kind:     global_buffer
      - .offset:         40
        .size:           4
        .value_kind:     by_value
      - .offset:         44
        .size:           4
        .value_kind:     by_value
      - .actual_access:  read_only
        .address_space:  global
        .offset:         48
        .size:           8
        .value_kind:     global_buffer
      - .actual_access:  read_only
        .address_space:  global
        .offset:         56
        .size:           8
        .value_kind:     global_buffer
      - .actual_access:  write_only
        .address_space:  global
        .offset:         64
        .size:           8
        .value_kind:     global_buffer
      - .offset:         72
        .size:           4
        .value_kind:     hidden_block_count_x
      - .offset:         76
        .size:           4
        .value_kind:     hidden_block_count_y
      - .offset:         80
        .size:           4
        .value_kind:     hidden_block_count_z
      - .offset:         84
        .size:           2
        .value_kind:     hidden_group_size_x
      - .offset:         86
        .size:           2
        .value_kind:     hidden_group_size_y
      - .offset:         88
        .size:           2
        .value_kind:     hidden_group_size_z
      - .offset:         90
        .size:           2
        .value_kind:     hidden_remainder_x
      - .offset:         92
        .size:           2
        .value_kind:     hidden_remainder_y
      - .offset:         94
        .size:           2
        .value_kind:     hidden_remainder_z
      - .offset:         112
        .size:           8
        .value_kind:     hidden_global_offset_x
      - .offset:         120
        .size:           8
        .value_kind:     hidden_global_offset_y
      - .offset:         128
        .size:           8
        .value_kind:     hidden_global_offset_z
      - .offset:         136
        .size:           2
        .value_kind:     hidden_grid_dims
    .group_segment_fixed_size: 0
    .kernarg_segment_align: 8
    .kernarg_segment_size: 328
    .language:       OpenCL C
    .language_version:
      - 2
      - 0
    .max_flat_workgroup_size: 1024
    .name:           _Z3lifmifPKfPfS1_ffS0_S0_S1_
    .private_segment_fixed_size: 0
    .sgpr_count:     21
    .sgpr_spill_count: 0
    .symbol:         _Z3lifmifPKfPfS1_ffS0_S0_S1_.kd
    .uniform_work_group_size: 1
    .uses_dynamic_stack: false
    .vgpr_count:     18
    .vgpr_spill_count: 0
    .wavefront_size: 32
amdhsa.target:   amdgcn-amd-amdhsa--gfx1250
amdhsa.version:
  - 1
  - 2
...

	.end_amdgpu_metadata
